;; amdgpu-corpus repo=ROCm/rocFFT kind=compiled arch=gfx1201 opt=O3
	.text
	.amdgcn_target "amdgcn-amd-amdhsa--gfx1201"
	.amdhsa_code_object_version 6
	.protected	bluestein_single_fwd_len11_dim1_dp_op_CI_CI ; -- Begin function bluestein_single_fwd_len11_dim1_dp_op_CI_CI
	.globl	bluestein_single_fwd_len11_dim1_dp_op_CI_CI
	.p2align	8
	.type	bluestein_single_fwd_len11_dim1_dp_op_CI_CI,@function
bluestein_single_fwd_len11_dim1_dp_op_CI_CI: ; @bluestein_single_fwd_len11_dim1_dp_op_CI_CI
; %bb.0:
	s_load_b128 s[8:11], s[0:1], 0x28
	v_lshl_or_b32 v16, ttmp9, 7, v0
	v_mov_b32_e32 v17, 0
	s_mov_b32 s2, exec_lo
	s_wait_kmcnt 0x0
	s_delay_alu instid0(VALU_DEP_1)
	v_cmpx_gt_u64_e64 s[8:9], v[16:17]
	s_cbranch_execz .LBB0_2
; %bb.1:
	s_load_b128 s[20:23], s[0:1], 0x18
                                        ; implicit-def: $vgpr198 : SGPR spill to VGPR lane
	s_mov_b32 s88, 0x43842ef
	v_writelane_b32 v198, s0, 0
	s_mov_b32 s89, 0xbfefac9e
	s_mov_b32 s92, 0xbb3a28a1
	;; [unrolled: 1-line block ×4, first 2 shown]
	v_writelane_b32 v198, s1, 1
	s_mov_b32 s97, 0xbfd207e7
	s_mov_b32 s34, 0x8764f0ba
	s_mov_b32 s86, 0xd9c712b6
	s_mov_b32 s35, 0x3feaeb8c
	s_mov_b32 s87, 0x3fda9628
	s_mov_b32 s90, 0x640f44db
	s_mov_b32 vcc_hi, 0x3fe14ced
	s_mov_b32 s85, 0x3fed1bb4
	s_mov_b32 s91, 0xbfc2375f
	;; [unrolled: 1-line block ×5, first 2 shown]
	s_wait_kmcnt 0x0
	s_load_b128 s[4:7], s[20:21], 0x0
	s_load_b64 s[20:21], s[0:1], 0x0
	s_mov_b32 s0, 0x8eee2c13
	s_mov_b32 s1, 0xbfed1bb4
	s_wait_alu 0xfffe
	s_mov_b32 s84, s0
	s_mov_b32 s95, 0xbfe4f49e
	;; [unrolled: 1-line block ×6, first 2 shown]
	s_wait_kmcnt 0x0
	v_mad_co_u64_u32 v[1:2], null, s6, v16, 0
	s_lshl_b64 s[12:13], s[4:5], 4
	s_lshl_b64 s[2:3], s[4:5], 5
	;; [unrolled: 1-line block ×3, first 2 shown]
	s_delay_alu instid0(VALU_DEP_1) | instskip(SKIP_1) | instid1(VALU_DEP_1)
	v_mad_co_u64_u32 v[2:3], null, s7, v16, v[2:3]
	s_lshl_b64 s[6:7], s[4:5], 6
	v_lshlrev_b64_e32 v[1:2], 4, v[1:2]
	s_delay_alu instid0(VALU_DEP_1) | instskip(NEXT) | instid1(VALU_DEP_2)
	v_add_co_u32 v1, vcc_lo, s10, v1
	v_add_co_ci_u32_e32 v2, vcc_lo, s11, v2, vcc_lo
	s_delay_alu instid0(VALU_DEP_2) | instskip(NEXT) | instid1(VALU_DEP_2)
	v_add_co_u32 v5, vcc_lo, v1, s12
	v_mad_co_u64_u32 v[29:30], null, 0x50, s4, v[1:2]
	v_mad_co_u64_u32 v[13:14], null, s4, 48, v[1:2]
	v_mad_co_u64_u32 v[33:34], null, 0x60, s4, v[1:2]
	v_mad_co_u64_u32 v[37:38], null, 0x70, s4, v[1:2]
	v_mad_co_u64_u32 v[41:42], null, 0x90, s4, v[1:2]
	v_mov_b32_e32 v15, v30
	v_mad_co_u64_u32 v[45:46], null, 0xa0, s4, v[1:2]
	s_delay_alu instid0(VALU_DEP_4) | instskip(NEXT) | instid1(VALU_DEP_3)
	v_dual_mov_b32 v23, v34 :: v_dual_mov_b32 v24, v38
	v_mad_co_u64_u32 v[27:28], null, s5, 48, v[14:15]
	s_wait_alu 0xfffd
	v_add_co_ci_u32_e32 v6, vcc_lo, s13, v2, vcc_lo
	s_delay_alu instid0(VALU_DEP_4) | instskip(SKIP_1) | instid1(VALU_DEP_4)
	v_mov_b32_e32 v26, v46
	v_add_co_u32 v9, vcc_lo, v1, s2
	v_dual_mov_b32 v25, v42 :: v_dual_mov_b32 v14, v27
	s_wait_alu 0xfffd
	v_add_co_ci_u32_e32 v10, vcc_lo, s3, v2, vcc_lo
	v_mad_co_u64_u32 v[30:31], null, 0x50, s5, v[15:16]
	s_wait_alu 0xfffe
	v_add_co_u32 v17, vcc_lo, v1, s6
	v_mad_co_u64_u32 v[31:32], null, 0x60, s5, v[23:24]
	s_wait_alu 0xfffd
	v_add_co_ci_u32_e32 v18, vcc_lo, s7, v2, vcc_lo
	v_add_co_u32 v21, vcc_lo, v1, s8
	v_mad_co_u64_u32 v[35:36], null, 0x70, s5, v[24:25]
	v_mad_co_u64_u32 v[39:40], null, 0x90, s5, v[25:26]
	s_wait_alu 0xfffd
	v_add_co_ci_u32_e32 v22, vcc_lo, s9, v2, vcc_lo
	v_mad_co_u64_u32 v[43:44], null, 0xa0, s5, v[26:27]
	v_mov_b32_e32 v34, v31
	s_clause 0x5
	global_load_b128 v[1:4], v[1:2], off
	global_load_b128 v[5:8], v[5:6], off
	;; [unrolled: 1-line block ×6, first 2 shown]
	v_mov_b32_e32 v38, v35
	s_clause 0x1
	global_load_b128 v[29:32], v[29:30], off
	global_load_b128 v[33:36], v[33:34], off
	v_mov_b32_e32 v42, v39
	v_mov_b32_e32 v46, v43
	s_clause 0x2
	global_load_b128 v[37:40], v[37:38], off
	global_load_b128 v[41:44], v[41:42], off
	;; [unrolled: 1-line block ×3, first 2 shown]
	s_clause 0x2
	s_load_b512 s[52:67], s[20:21], 0x0
	s_load_b512 s[36:51], s[20:21], 0x40
	s_load_b512 s[4:19], s[20:21], 0x80
	s_load_b128 s[28:31], s[22:23], 0x0
	s_mov_b32 s2, 0xf8bb580b
	s_mov_b32 s3, 0xbfe14ced
	s_wait_alu 0xfffe
	s_mov_b32 vcc_lo, s2
	s_wait_loadcnt 0xa
	s_wait_kmcnt 0x0
	v_mul_f64_e32 v[13:14], s[54:55], v[3:4]
	v_mul_f64_e32 v[49:50], s[54:55], v[1:2]
	s_wait_loadcnt 0x9
	v_mul_f64_e32 v[51:52], s[58:59], v[7:8]
	v_mul_f64_e32 v[53:54], s[58:59], v[5:6]
	s_wait_loadcnt 0x8
	;; [unrolled: 3-line block ×10, first 2 shown]
	v_mul_f64_e32 v[87:88], s[14:15], v[47:48]
	v_mul_f64_e32 v[89:90], s[14:15], v[45:46]
	v_fma_f64 v[1:2], v[1:2], s[52:53], v[13:14]
	v_fma_f64 v[3:4], v[3:4], s[52:53], -v[49:50]
	v_fma_f64 v[5:6], v[5:6], s[56:57], v[51:52]
	v_fma_f64 v[7:8], v[7:8], s[56:57], -v[53:54]
	;; [unrolled: 2-line block ×11, first 2 shown]
	v_mul_u32_u24_e32 v17, 0xb0, v0
	ds_store_b128 v17, v[1:4]
	ds_store_b128 v17, v[5:8] offset:16
	ds_store_b128 v17, v[9:12] offset:32
	;; [unrolled: 1-line block ×10, first 2 shown]
	global_wb scope:SCOPE_SE
	s_wait_dscnt 0x0
	s_barrier_signal -1
	s_barrier_wait -1
	global_inv scope:SCOPE_SE
	ds_load_b128 v[4:7], v17
	ds_load_b128 v[18:21], v17 offset:16
	ds_load_b128 v[0:3], v17 offset:160
	;; [unrolled: 1-line block ×10, first 2 shown]
	s_wait_dscnt 0x9
	v_add_f64_e32 v[46:47], v[4:5], v[18:19]
	v_add_f64_e32 v[48:49], v[6:7], v[20:21]
	s_wait_dscnt 0x8
	v_add_f64_e64 v[50:51], v[20:21], -v[2:3]
	v_add_f64_e64 v[52:53], v[18:19], -v[0:1]
	s_wait_dscnt 0x4
	v_add_f64_e64 v[58:59], v[28:29], -v[14:15]
	v_add_f64_e64 v[60:61], v[26:27], -v[12:13]
	v_add_f64_e32 v[62:63], v[26:27], v[12:13]
	v_add_f64_e32 v[64:65], v[28:29], v[14:15]
	v_add_f64_e64 v[54:55], v[24:25], -v[10:11]
	v_add_f64_e64 v[56:57], v[22:23], -v[8:9]
	v_add_f64_e32 v[18:19], v[18:19], v[0:1]
	v_add_f64_e32 v[20:21], v[20:21], v[2:3]
	s_wait_dscnt 0x0
	v_add_f64_e64 v[78:79], v[42:43], -v[30:31]
	v_add_f64_e32 v[66:67], v[38:39], v[34:35]
	v_add_f64_e32 v[68:69], v[40:41], v[36:37]
	v_add_f64_e64 v[70:71], v[40:41], -v[36:37]
	v_add_f64_e64 v[72:73], v[38:39], -v[34:35]
	v_add_f64_e32 v[74:75], v[42:43], v[30:31]
	v_add_f64_e32 v[76:77], v[44:45], v[32:33]
	v_add_f64_e64 v[80:81], v[44:45], -v[32:33]
	v_add_f64_e32 v[46:47], v[46:47], v[22:23]
	v_add_f64_e32 v[48:49], v[48:49], v[24:25]
	v_mul_f64_e32 v[82:83], s[2:3], v[50:51]
	v_mul_f64_e32 v[84:85], s[2:3], v[52:53]
	;; [unrolled: 1-line block ×10, first 2 shown]
	v_add_f64_e32 v[22:23], v[22:23], v[8:9]
	v_add_f64_e32 v[24:25], v[24:25], v[10:11]
	v_mul_f64_e32 v[98:99], s[0:1], v[54:55]
	v_mul_f64_e32 v[100:101], s[0:1], v[56:57]
	;; [unrolled: 1-line block ×4, first 2 shown]
	s_wait_alu 0xfffe
	v_mul_f64_e32 v[148:149], vcc, v[78:79]
	v_mul_f64_e32 v[152:153], s[92:93], v[78:79]
	v_mul_f64_e32 v[156:157], s[84:85], v[78:79]
	;; [unrolled: 1-line block ×19, first 2 shown]
	v_add_f64_e32 v[26:27], v[46:47], v[26:27]
	v_add_f64_e32 v[28:29], v[48:49], v[28:29]
	v_mul_f64_e32 v[46:47], s[92:93], v[56:57]
	v_mul_f64_e32 v[48:49], s[102:103], v[54:55]
	v_fma_f64 v[158:159], v[18:19], s[86:87], -v[86:87]
	v_fma_f64 v[160:161], v[20:21], s[86:87], v[88:89]
	v_fma_f64 v[86:87], v[18:19], s[86:87], v[86:87]
	v_fma_f64 v[162:163], v[18:19], s[90:91], -v[90:91]
	v_fma_f64 v[164:165], v[20:21], s[90:91], v[92:93]
	v_fma_f64 v[90:91], v[18:19], s[90:91], v[90:91]
	v_fma_f64 v[166:167], v[18:19], s[94:95], -v[94:95]
	v_fma_f64 v[168:169], v[20:21], s[94:95], v[96:97]
	v_mul_f64_e32 v[54:55], vcc, v[54:55]
	v_mul_f64_e32 v[56:57], vcc, v[56:57]
	v_fma_f64 v[94:95], v[18:19], s[94:95], v[94:95]
	v_fma_f64 v[170:171], v[18:19], s[98:99], -v[50:51]
	v_fma_f64 v[172:173], v[20:21], s[98:99], v[52:53]
	v_fma_f64 v[88:89], v[20:21], s[86:87], -v[88:89]
	v_fma_f64 v[92:93], v[20:21], s[90:91], -v[92:93]
	;; [unrolled: 1-line block ×4, first 2 shown]
	v_fma_f64 v[102:103], v[22:23], s[94:95], v[102:103]
	v_fma_f64 v[180:181], v[24:25], s[98:99], v[104:105]
	v_fma_f64 v[182:183], v[22:23], s[90:91], -v[106:107]
	v_fma_f64 v[184:185], v[24:25], s[90:91], v[108:109]
	v_fma_f64 v[106:107], v[22:23], s[90:91], v[106:107]
	v_fma_f64 v[104:105], v[24:25], s[98:99], -v[104:105]
	v_fma_f64 v[186:187], v[62:63], s[98:99], -v[114:115]
	v_fma_f64 v[188:189], v[64:65], s[98:99], v[116:117]
	v_mul_f64_e32 v[134:135], s[2:3], v[70:71]
	v_mul_f64_e32 v[136:137], s[2:3], v[72:73]
	v_fma_f64 v[190:191], v[62:63], s[86:87], -v[118:119]
	v_fma_f64 v[192:193], v[64:65], s[86:87], v[120:121]
	v_mul_f64_e32 v[138:139], s[96:97], v[70:71]
	v_mul_f64_e32 v[140:141], s[96:97], v[72:73]
	;; [unrolled: 1-line block ×4, first 2 shown]
	v_fma_f64 v[118:119], v[62:63], s[86:87], v[118:119]
	v_add_f64_e32 v[26:27], v[26:27], v[38:39]
	v_add_f64_e32 v[28:29], v[28:29], v[40:41]
	v_mul_f64_e32 v[38:39], s[88:89], v[78:79]
	v_fma_f64 v[40:41], v[18:19], s[34:35], -v[82:83]
	v_fma_f64 v[78:79], v[20:21], s[34:35], v[84:85]
	v_fma_f64 v[82:83], v[18:19], s[34:35], v[82:83]
	v_fma_f64 v[84:85], v[20:21], s[34:35], -v[84:85]
	v_fma_f64 v[18:19], v[18:19], s[98:99], v[50:51]
	v_fma_f64 v[20:21], v[20:21], s[98:99], -v[52:53]
	v_fma_f64 v[50:51], v[22:23], s[86:87], -v[98:99]
	v_fma_f64 v[52:53], v[24:25], s[86:87], v[100:101]
	v_fma_f64 v[98:99], v[22:23], s[86:87], v[98:99]
	v_fma_f64 v[100:101], v[24:25], s[86:87], -v[100:101]
	v_fma_f64 v[176:177], v[24:25], s[94:95], v[46:47]
	v_add_f64_e32 v[158:159], v[4:5], v[158:159]
	v_add_f64_e32 v[160:161], v[6:7], v[160:161]
	v_fma_f64 v[178:179], v[22:23], s[98:99], -v[48:49]
	v_add_f64_e32 v[86:87], v[4:5], v[86:87]
	v_add_f64_e32 v[162:163], v[4:5], v[162:163]
	;; [unrolled: 1-line block ×3, first 2 shown]
	v_fma_f64 v[48:49], v[22:23], s[98:99], v[48:49]
	v_add_f64_e32 v[90:91], v[4:5], v[90:91]
	v_add_f64_e32 v[166:167], v[4:5], v[166:167]
	;; [unrolled: 1-line block ×6, first 2 shown]
	v_fma_f64 v[46:47], v[24:25], s[94:95], -v[46:47]
	v_add_f64_e32 v[92:93], v[6:7], v[92:93]
	v_add_f64_e32 v[88:89], v[6:7], v[88:89]
	v_fma_f64 v[120:121], v[64:65], s[86:87], -v[120:121]
	v_fma_f64 v[114:115], v[62:63], s[98:99], v[114:115]
	v_fma_f64 v[116:117], v[64:65], s[98:99], -v[116:117]
	v_mul_f64_e32 v[146:147], vcc, v[80:81]
	v_fma_f64 v[194:195], v[66:67], s[90:91], -v[130:131]
	v_fma_f64 v[196:197], v[68:69], s[90:91], v[132:133]
	v_mul_f64_e32 v[150:151], s[92:93], v[80:81]
	v_mul_f64_e32 v[154:155], s[84:85], v[80:81]
	v_add_f64_e32 v[26:27], v[26:27], v[42:43]
	v_add_f64_e32 v[28:29], v[28:29], v[44:45]
	v_fma_f64 v[42:43], v[24:25], s[90:91], -v[108:109]
	v_add_f64_e32 v[40:41], v[4:5], v[40:41]
	v_fma_f64 v[44:45], v[22:23], s[34:35], -v[54:55]
	v_add_f64_e32 v[82:83], v[4:5], v[82:83]
	v_add_f64_e32 v[84:85], v[6:7], v[84:85]
	v_fma_f64 v[108:109], v[24:25], s[34:35], v[56:57]
	v_fma_f64 v[22:23], v[22:23], s[34:35], v[54:55]
	v_fma_f64 v[24:25], v[24:25], s[34:35], -v[56:57]
	v_add_f64_e32 v[4:5], v[4:5], v[18:19]
	v_add_f64_e32 v[18:19], v[6:7], v[20:21]
	;; [unrolled: 1-line block ×4, first 2 shown]
	v_fma_f64 v[54:55], v[62:63], s[90:91], -v[110:111]
	v_fma_f64 v[56:57], v[64:65], s[90:91], v[112:113]
	v_fma_f64 v[110:111], v[62:63], s[90:91], v[110:111]
	v_fma_f64 v[112:113], v[64:65], s[90:91], -v[112:113]
	v_add_f64_e32 v[86:87], v[102:103], v[86:87]
	v_add_f64_e32 v[102:103], v[180:181], v[164:165]
	v_fma_f64 v[78:79], v[62:63], s[34:35], v[122:123]
	v_add_f64_e32 v[48:49], v[48:49], v[90:91]
	v_add_f64_e32 v[90:91], v[182:183], v[166:167]
	v_fma_f64 v[96:97], v[64:65], s[34:35], -v[124:125]
	v_add_f64_e32 v[94:95], v[106:107], v[94:95]
	v_mul_f64_e32 v[142:143], s[96:97], v[80:81]
	v_mul_f64_e32 v[80:81], s[88:89], v[80:81]
	v_fma_f64 v[130:131], v[66:67], s[90:91], v[130:131]
	v_fma_f64 v[132:133], v[68:69], s[90:91], -v[132:133]
	v_add_f64_e32 v[26:27], v[26:27], v[30:31]
	v_add_f64_e32 v[28:29], v[28:29], v[32:33]
	v_fma_f64 v[30:31], v[62:63], s[34:35], -v[122:123]
	v_add_f64_e32 v[40:41], v[50:51], v[40:41]
	v_fma_f64 v[32:33], v[64:65], s[34:35], v[124:125]
	v_add_f64_e32 v[50:51], v[98:99], v[82:83]
	v_add_f64_e32 v[82:83], v[100:101], v[84:85]
	;; [unrolled: 1-line block ×6, first 2 shown]
	v_fma_f64 v[122:123], v[62:63], s[94:95], -v[58:59]
	v_fma_f64 v[124:125], v[64:65], s[94:95], v[60:61]
	v_add_f64_e32 v[44:45], v[44:45], v[170:171]
	v_add_f64_e32 v[106:107], v[108:109], v[172:173]
	v_fma_f64 v[58:59], v[62:63], s[94:95], v[58:59]
	v_fma_f64 v[60:61], v[64:65], s[94:95], -v[60:61]
	v_add_f64_e32 v[4:5], v[22:23], v[4:5]
	v_add_f64_e32 v[18:19], v[24:25], v[18:19]
	;; [unrolled: 1-line block ×6, first 2 shown]
	v_fma_f64 v[62:63], v[66:67], s[94:95], -v[126:127]
	v_fma_f64 v[64:65], v[68:69], s[94:95], v[128:129]
	v_fma_f64 v[126:127], v[66:67], s[94:95], v[126:127]
	v_fma_f64 v[128:129], v[68:69], s[94:95], -v[128:129]
	v_fma_f64 v[52:53], v[66:67], s[98:99], -v[138:139]
	v_fma_f64 v[88:89], v[68:69], s[98:99], v[140:141]
	v_fma_f64 v[42:43], v[66:67], s[34:35], v[134:135]
	v_fma_f64 v[108:109], v[66:67], s[86:87], -v[70:71]
	v_fma_f64 v[46:47], v[68:69], s[34:35], -v[136:137]
	v_fma_f64 v[92:93], v[66:67], s[98:99], v[138:139]
	v_fma_f64 v[104:105], v[68:69], s[98:99], -v[140:141]
	v_add_f64_e32 v[48:49], v[118:119], v[48:49]
	v_add_f64_e32 v[78:79], v[78:79], v[94:95]
	;; [unrolled: 1-line block ×3, first 2 shown]
	v_fma_f64 v[138:139], v[76:77], s[98:99], -v[144:145]
	v_add_f64_e32 v[26:27], v[26:27], v[34:35]
	v_add_f64_e32 v[28:29], v[28:29], v[36:37]
	v_fma_f64 v[34:35], v[66:67], s[34:35], -v[134:135]
	v_add_f64_e32 v[40:41], v[54:55], v[40:41]
	v_fma_f64 v[36:37], v[68:69], s[34:35], v[136:137]
	v_add_f64_e32 v[50:51], v[110:111], v[50:51]
	v_add_f64_e32 v[54:55], v[112:113], v[82:83]
	;; [unrolled: 1-line block ×8, first 2 shown]
	v_fma_f64 v[134:135], v[68:69], s[86:87], v[72:73]
	v_add_f64_e32 v[44:45], v[122:123], v[44:45]
	v_add_f64_e32 v[90:91], v[124:125], v[106:107]
	v_fma_f64 v[66:67], v[66:67], s[86:87], v[70:71]
	v_fma_f64 v[68:69], v[68:69], s[86:87], -v[72:73]
	v_add_f64_e32 v[4:5], v[58:59], v[4:5]
	v_add_f64_e32 v[18:19], v[60:61], v[18:19]
	;; [unrolled: 1-line block ×6, first 2 shown]
	v_fma_f64 v[72:73], v[76:77], s[98:99], v[144:145]
	v_fma_f64 v[58:59], v[76:77], s[34:35], -v[148:149]
	v_fma_f64 v[94:95], v[76:77], s[94:95], v[152:153]
	v_fma_f64 v[102:103], v[76:77], s[94:95], -v[152:153]
	;; [unrolled: 2-line block ×4, first 2 shown]
	v_fma_f64 v[106:107], v[74:75], s[86:87], -v[154:155]
	v_fma_f64 v[70:71], v[74:75], s[98:99], -v[142:143]
	v_fma_f64 v[136:137], v[74:75], s[98:99], v[142:143]
	v_fma_f64 v[116:117], v[74:75], s[90:91], -v[80:81]
	v_fma_f64 v[56:57], v[74:75], s[34:35], v[146:147]
	v_fma_f64 v[96:97], v[74:75], s[94:95], v[150:151]
	v_add_f64_e32 v[12:13], v[26:27], v[12:13]
	v_add_f64_e32 v[14:15], v[28:29], v[14:15]
	v_fma_f64 v[26:27], v[74:75], s[34:35], -v[146:147]
	v_fma_f64 v[28:29], v[76:77], s[34:35], v[148:149]
	v_fma_f64 v[76:77], v[76:77], s[90:91], -v[38:39]
	v_add_f64_e32 v[38:39], v[62:63], v[40:41]
	v_add_f64_e32 v[40:41], v[126:127], v[50:51]
	v_add_f64_e32 v[50:51], v[128:129], v[54:55]
	v_add_f64_e32 v[54:55], v[194:195], v[82:83]
	v_add_f64_e32 v[62:63], v[196:197], v[84:85]
	v_add_f64_e32 v[34:35], v[34:35], v[98:99]
	v_add_f64_e32 v[36:37], v[36:37], v[100:101]
	v_add_f64_e32 v[30:31], v[52:53], v[30:31]
	v_add_f64_e32 v[32:33], v[88:89], v[32:33]
	v_add_f64_e32 v[44:45], v[108:109], v[44:45]
	v_add_f64_e32 v[52:53], v[134:135], v[90:91]
	v_fma_f64 v[112:113], v[74:75], s[86:87], v[154:155]
	v_fma_f64 v[74:75], v[74:75], s[90:91], v[80:81]
	v_add_f64_e32 v[42:43], v[42:43], v[48:49]
	v_add_f64_e32 v[66:67], v[66:67], v[4:5]
	v_add_f64_e32 v[68:69], v[68:69], v[18:19]
	v_add_f64_e32 v[48:49], v[92:93], v[78:79]
	v_add_f64_e32 v[20:21], v[104:105], v[20:21]
	v_add_f64_e32 v[46:47], v[46:47], v[22:23]
	v_add_f64_e32 v[80:81], v[130:131], v[86:87]
	v_add_f64_e32 v[78:79], v[132:133], v[24:25]
	v_add_f64_e32 v[6:7], v[64:65], v[6:7]
	v_add_f64_e32 v[82:83], v[12:13], v[8:9]
	v_add_f64_e32 v[84:85], v[14:15], v[10:11]
	v_add_f64_e32 v[4:5], v[70:71], v[38:39]
	v_add_f64_e32 v[8:9], v[136:137], v[40:41]
	v_add_f64_e32 v[10:11], v[138:139], v[50:51]
	v_add_f64_e32 v[12:13], v[26:27], v[54:55]
	v_add_f64_e32 v[14:15], v[28:29], v[62:63]
	v_add_f64_e32 v[22:23], v[60:61], v[34:35]
	v_add_f64_e32 v[24:25], v[94:95], v[36:37]
	v_add_f64_e32 v[30:31], v[106:107], v[30:31]
	v_add_f64_e32 v[32:33], v[110:111], v[32:33]
	v_add_f64_e32 v[38:39], v[116:117], v[44:45]
	v_add_f64_e32 v[40:41], v[118:119], v[52:53]
	v_add_f64_e32 v[26:27], v[96:97], v[42:43]
	v_add_f64_e32 v[42:43], v[74:75], v[66:67]
	v_add_f64_e32 v[44:45], v[76:77], v[68:69]
	v_add_f64_e32 v[34:35], v[112:113], v[48:49]
	v_add_f64_e32 v[36:37], v[114:115], v[20:21]
	v_add_f64_e32 v[28:29], v[102:103], v[46:47]
	v_add_f64_e32 v[18:19], v[56:57], v[80:81]
	v_add_f64_e32 v[20:21], v[58:59], v[78:79]
	v_add_f64_e32 v[6:7], v[72:73], v[6:7]
	v_add_f64_e32 v[0:1], v[82:83], v[0:1]
	v_add_f64_e32 v[2:3], v[84:85], v[2:3]
	ds_store_b128 v17, v[12:15] offset:32
	ds_store_b128 v17, v[22:25] offset:48
	;; [unrolled: 1-line block ×9, first 2 shown]
	ds_store_b128 v17, v[0:3]
	ds_store_b128 v17, v[4:7] offset:16
	global_wb scope:SCOPE_SE
	s_wait_dscnt 0x0
	s_barrier_signal -1
	s_barrier_wait -1
	global_inv scope:SCOPE_SE
	ds_load_b128 v[0:3], v17 offset:16
	s_load_b512 s[68:83], s[20:21], 0xc0
	ds_load_b128 v[4:7], v17 offset:32
	ds_load_b128 v[8:11], v17 offset:48
	;; [unrolled: 1-line block ×4, first 2 shown]
	s_wait_dscnt 0x4
	s_wait_kmcnt 0x0
	v_mul_f64_e32 v[22:23], s[70:71], v[2:3]
	v_mul_f64_e32 v[24:25], s[70:71], v[0:1]
	s_wait_dscnt 0x3
	v_mul_f64_e32 v[26:27], s[74:75], v[6:7]
	v_mul_f64_e32 v[28:29], s[74:75], v[4:5]
	s_wait_dscnt 0x2
	;; [unrolled: 3-line block ×3, first 2 shown]
	v_mul_f64_e32 v[34:35], s[82:83], v[14:15]
	v_mul_f64_e32 v[36:37], s[82:83], v[12:13]
	v_fma_f64 v[0:1], v[0:1], s[68:69], -v[22:23]
	v_fma_f64 v[2:3], v[2:3], s[68:69], v[24:25]
	v_fma_f64 v[4:5], v[4:5], s[72:73], -v[26:27]
	v_fma_f64 v[6:7], v[6:7], s[72:73], v[28:29]
	v_fma_f64 v[8:9], v[8:9], s[76:77], -v[30:31]
	v_fma_f64 v[10:11], v[10:11], s[76:77], v[32:33]
	v_fma_f64 v[12:13], v[12:13], s[80:81], -v[34:35]
	v_fma_f64 v[14:15], v[14:15], s[80:81], v[36:37]
	s_load_b512 s[68:83], s[20:21], 0x100
	ds_load_b128 v[22:25], v17 offset:96
	ds_load_b128 v[26:29], v17 offset:112
	;; [unrolled: 1-line block ×4, first 2 shown]
	ds_load_b128 v[38:41], v17
	s_load_b256 s[20:27], s[20:21], 0x140
	s_wait_dscnt 0x5
	s_wait_kmcnt 0x0
	v_mul_f64_e32 v[42:43], s[70:71], v[20:21]
	v_mul_f64_e32 v[44:45], s[70:71], v[18:19]
	s_wait_dscnt 0x4
	v_mul_f64_e32 v[46:47], s[74:75], v[24:25]
	v_mul_f64_e32 v[48:49], s[74:75], v[22:23]
	s_wait_dscnt 0x3
	;; [unrolled: 3-line block ×3, first 2 shown]
	v_mul_f64_e32 v[54:55], s[82:83], v[32:33]
	v_mul_f64_e32 v[56:57], s[82:83], v[30:31]
	v_fma_f64 v[18:19], v[18:19], s[68:69], -v[42:43]
	v_fma_f64 v[20:21], v[20:21], s[68:69], v[44:45]
	ds_load_b128 v[42:45], v17 offset:160
	v_fma_f64 v[22:23], v[22:23], s[72:73], -v[46:47]
	v_fma_f64 v[24:25], v[24:25], s[72:73], v[48:49]
	s_wait_dscnt 0x1
	v_mul_f64_e32 v[46:47], s[18:19], v[40:41]
	v_mul_f64_e32 v[48:49], s[18:19], v[38:39]
	v_fma_f64 v[26:27], v[26:27], s[76:77], -v[50:51]
	v_fma_f64 v[28:29], v[28:29], s[76:77], v[52:53]
	v_mul_f64_e32 v[50:51], s[22:23], v[36:37]
	v_mul_f64_e32 v[52:53], s[22:23], v[34:35]
	v_fma_f64 v[30:31], v[30:31], s[80:81], -v[54:55]
	v_fma_f64 v[32:33], v[32:33], s[80:81], v[56:57]
	s_wait_dscnt 0x0
	v_mul_f64_e32 v[54:55], s[26:27], v[44:45]
	v_mul_f64_e32 v[56:57], s[26:27], v[42:43]
	v_fma_f64 v[38:39], v[38:39], s[16:17], -v[46:47]
	v_fma_f64 v[40:41], v[40:41], s[16:17], v[48:49]
	s_mov_b32 s17, 0x3fe82f19
	s_mov_b32 s16, s92
	v_fma_f64 v[34:35], v[34:35], s[20:21], -v[50:51]
	v_fma_f64 v[36:37], v[36:37], s[20:21], v[52:53]
	v_fma_f64 v[42:43], v[42:43], s[24:25], -v[54:55]
	v_fma_f64 v[44:45], v[44:45], s[24:25], v[56:57]
	ds_store_b128 v17, v[38:41]
	ds_store_b128 v17, v[0:3] offset:16
	ds_store_b128 v17, v[4:7] offset:32
	;; [unrolled: 1-line block ×10, first 2 shown]
	global_wb scope:SCOPE_SE
	s_wait_dscnt 0x0
	s_barrier_signal -1
	s_barrier_wait -1
	global_inv scope:SCOPE_SE
	ds_load_b128 v[8:11], v17
	ds_load_b128 v[18:21], v17 offset:16
	ds_load_b128 v[0:3], v17 offset:160
	;; [unrolled: 1-line block ×10, first 2 shown]
	s_wait_dscnt 0x9
	v_add_f64_e32 v[46:47], v[8:9], v[18:19]
	v_add_f64_e32 v[48:49], v[10:11], v[20:21]
	s_wait_dscnt 0x6
	v_add_f64_e64 v[52:53], v[24:25], -v[6:7]
	v_add_f64_e32 v[54:55], v[24:25], v[6:7]
	v_add_f64_e64 v[50:51], v[20:21], -v[2:3]
	v_add_f64_e32 v[20:21], v[20:21], v[2:3]
	s_wait_dscnt 0x4
	v_add_f64_e32 v[62:63], v[26:27], v[12:13]
	v_add_f64_e64 v[64:65], v[26:27], -v[12:13]
	v_add_f64_e32 v[58:59], v[18:19], v[0:1]
	v_add_f64_e64 v[18:19], v[18:19], -v[0:1]
	s_wait_dscnt 0x0
	v_add_f64_e32 v[76:77], v[44:45], v[32:33]
	v_add_f64_e32 v[56:57], v[28:29], v[14:15]
	;; [unrolled: 1-line block ×5, first 2 shown]
	v_add_f64_e64 v[70:71], v[40:41], -v[36:37]
	v_add_f64_e64 v[72:73], v[38:39], -v[34:35]
	v_add_f64_e32 v[74:75], v[42:43], v[30:31]
	v_add_f64_e64 v[78:79], v[42:43], -v[30:31]
	v_add_f64_e64 v[80:81], v[44:45], -v[32:33]
	v_add_f64_e32 v[46:47], v[46:47], v[22:23]
	v_add_f64_e32 v[24:25], v[48:49], v[24:25]
	v_add_f64_e64 v[48:49], v[28:29], -v[14:15]
	v_add_f64_e64 v[22:23], v[22:23], -v[4:5]
	v_mul_f64_e32 v[82:83], s[2:3], v[50:51]
	v_mul_f64_e32 v[84:85], s[34:35], v[20:21]
	v_mul_f64_e32 v[86:87], s[0:1], v[50:51]
	v_mul_f64_e32 v[88:89], s[86:87], v[20:21]
	v_mul_f64_e32 v[90:91], s[88:89], v[50:51]
	v_mul_f64_e32 v[92:93], s[90:91], v[20:21]
	v_mul_f64_e32 v[94:95], s[92:93], v[50:51]
	v_mul_f64_e32 v[96:97], s[94:95], v[20:21]
	v_mul_f64_e32 v[50:51], s[96:97], v[50:51]
	v_mul_f64_e32 v[20:21], s[98:99], v[20:21]
	v_mul_f64_e32 v[98:99], s[0:1], v[52:53]
	v_mul_f64_e32 v[100:101], s[86:87], v[54:55]
	v_mul_f64_e32 v[102:103], s[92:93], v[52:53]
	v_mul_f64_e32 v[144:145], s[98:99], v[76:77]
	v_mul_f64_e32 v[148:149], s[34:35], v[76:77]
	v_mul_f64_e32 v[152:153], s[94:95], v[76:77]
	v_mul_f64_e32 v[156:157], s[86:87], v[76:77]
	v_mul_f64_e32 v[104:105], s[98:99], v[54:55]
	v_mul_f64_e32 v[106:107], s[100:101], v[52:53]
	v_mul_f64_e32 v[108:109], s[90:91], v[54:55]
	v_mul_f64_e32 v[112:113], s[90:91], v[56:57]
	v_mul_f64_e32 v[116:117], s[98:99], v[56:57]
	v_mul_f64_e32 v[120:121], s[86:87], v[56:57]
	v_mul_f64_e32 v[124:125], s[34:35], v[56:57]
	v_mul_f64_e32 v[56:57], s[94:95], v[56:57]
	v_mul_f64_e32 v[126:127], s[92:93], v[70:71]
	v_mul_f64_e32 v[128:129], s[94:95], v[68:69]
	v_mul_f64_e32 v[130:131], s[100:101], v[70:71]
	v_mul_f64_e32 v[132:133], s[90:91], v[68:69]
	v_mul_f64_e32 v[134:135], s[2:3], v[70:71]
	v_mul_f64_e32 v[136:137], s[34:35], v[68:69]
	v_mul_f64_e32 v[138:139], s[96:97], v[70:71]
	v_mul_f64_e32 v[140:141], s[98:99], v[68:69]
	v_mul_f64_e32 v[70:71], s[84:85], v[70:71]
	v_add_f64_e32 v[26:27], v[46:47], v[26:27]
	v_add_f64_e32 v[24:25], v[24:25], v[28:29]
	v_mul_f64_e32 v[28:29], s[94:95], v[54:55]
	v_mul_f64_e32 v[46:47], s[102:103], v[52:53]
	v_mul_f64_e32 v[52:53], vcc, v[52:53]
	v_mul_f64_e32 v[54:55], s[34:35], v[54:55]
	v_fma_f64 v[158:159], v[58:59], s[86:87], v[86:87]
	v_fma_f64 v[160:161], v[18:19], s[84:85], v[88:89]
	v_fma_f64 v[86:87], v[58:59], s[86:87], -v[86:87]
	v_fma_f64 v[162:163], v[58:59], s[90:91], v[90:91]
	v_fma_f64 v[164:165], v[18:19], s[100:101], v[92:93]
	v_fma_f64 v[90:91], v[58:59], s[90:91], -v[90:91]
	v_fma_f64 v[166:167], v[58:59], s[94:95], v[94:95]
	s_wait_alu 0xfffe
	v_fma_f64 v[168:169], v[18:19], s[16:17], v[96:97]
	v_fma_f64 v[94:95], v[58:59], s[94:95], -v[94:95]
	v_fma_f64 v[170:171], v[58:59], s[98:99], v[50:51]
	v_fma_f64 v[172:173], v[18:19], s[102:103], v[20:21]
	;; [unrolled: 1-line block ×5, first 2 shown]
	v_fma_f64 v[50:51], v[58:59], s[98:99], -v[50:51]
	v_mul_f64_e32 v[110:111], s[88:89], v[48:49]
	v_mul_f64_e32 v[114:115], s[102:103], v[48:49]
	v_fma_f64 v[174:175], v[60:61], s[94:95], v[102:103]
	v_mul_f64_e32 v[118:119], s[84:85], v[48:49]
	v_fma_f64 v[102:103], v[60:61], s[94:95], -v[102:103]
	v_fma_f64 v[180:181], v[22:23], s[96:97], v[104:105]
	v_mul_f64_e32 v[122:123], s[2:3], v[48:49]
	v_fma_f64 v[182:183], v[60:61], s[90:91], v[106:107]
	v_fma_f64 v[184:185], v[22:23], s[88:89], v[108:109]
	v_mul_f64_e32 v[48:49], s[92:93], v[48:49]
	v_fma_f64 v[106:107], v[60:61], s[90:91], -v[106:107]
	v_fma_f64 v[104:105], v[22:23], s[102:103], v[104:105]
	v_fma_f64 v[188:189], v[64:65], s[96:97], v[116:117]
	v_fma_f64 v[192:193], v[64:65], s[0:1], v[120:121]
	v_mul_f64_e32 v[68:69], s[86:87], v[68:69]
	v_fma_f64 v[120:121], v[64:65], s[84:85], v[120:121]
	v_fma_f64 v[116:117], v[64:65], s[102:103], v[116:117]
	v_add_f64_e32 v[26:27], v[26:27], v[38:39]
	v_add_f64_e32 v[24:25], v[24:25], v[40:41]
	v_mul_f64_e32 v[38:39], s[90:91], v[76:77]
	v_fma_f64 v[40:41], v[58:59], s[34:35], v[82:83]
	v_fma_f64 v[76:77], v[18:19], vcc, v[84:85]
	v_fma_f64 v[82:83], v[58:59], s[34:35], -v[82:83]
	v_fma_f64 v[84:85], v[18:19], s[2:3], v[84:85]
	v_fma_f64 v[18:19], v[18:19], s[96:97], v[20:21]
	;; [unrolled: 1-line block ×4, first 2 shown]
	v_fma_f64 v[98:99], v[60:61], s[86:87], -v[98:99]
	v_fma_f64 v[100:101], v[22:23], s[0:1], v[100:101]
	v_fma_f64 v[176:177], v[22:23], s[16:17], v[28:29]
	v_add_f64_e32 v[158:159], v[8:9], v[158:159]
	v_add_f64_e32 v[160:161], v[10:11], v[160:161]
	v_fma_f64 v[178:179], v[60:61], s[98:99], v[46:47]
	v_add_f64_e32 v[86:87], v[8:9], v[86:87]
	v_add_f64_e32 v[162:163], v[8:9], v[162:163]
	;; [unrolled: 1-line block ×3, first 2 shown]
	v_fma_f64 v[46:47], v[60:61], s[98:99], -v[46:47]
	v_add_f64_e32 v[90:91], v[8:9], v[90:91]
	v_add_f64_e32 v[166:167], v[8:9], v[166:167]
	;; [unrolled: 1-line block ×6, first 2 shown]
	v_fma_f64 v[28:29], v[22:23], s[92:93], v[28:29]
	v_add_f64_e32 v[92:93], v[10:11], v[92:93]
	v_add_f64_e32 v[88:89], v[10:11], v[88:89]
	v_fma_f64 v[186:187], v[62:63], s[98:99], v[114:115]
	v_fma_f64 v[190:191], v[62:63], s[86:87], v[118:119]
	v_fma_f64 v[118:119], v[62:63], s[86:87], -v[118:119]
	v_fma_f64 v[114:115], v[62:63], s[98:99], -v[114:115]
	v_mul_f64_e32 v[146:147], vcc, v[80:81]
	v_fma_f64 v[194:195], v[66:67], s[90:91], v[130:131]
	v_fma_f64 v[196:197], v[72:73], s[88:89], v[132:133]
	v_mul_f64_e32 v[150:151], s[92:93], v[80:81]
	v_mul_f64_e32 v[154:155], s[84:85], v[80:81]
	v_add_f64_e32 v[26:27], v[26:27], v[42:43]
	v_add_f64_e32 v[24:25], v[24:25], v[44:45]
	v_fma_f64 v[42:43], v[22:23], s[100:101], v[108:109]
	v_add_f64_e32 v[40:41], v[8:9], v[40:41]
	v_fma_f64 v[44:45], v[60:61], s[34:35], v[52:53]
	v_add_f64_e32 v[82:83], v[8:9], v[82:83]
	v_add_f64_e32 v[84:85], v[10:11], v[84:85]
	v_fma_f64 v[108:109], v[22:23], s[2:3], v[54:55]
	v_fma_f64 v[52:53], v[60:61], s[34:35], -v[52:53]
	v_fma_f64 v[22:23], v[22:23], vcc, v[54:55]
	v_add_f64_e32 v[8:9], v[8:9], v[50:51]
	v_add_f64_e32 v[18:19], v[10:11], v[18:19]
	;; [unrolled: 1-line block ×4, first 2 shown]
	v_fma_f64 v[54:55], v[62:63], s[90:91], v[110:111]
	v_fma_f64 v[60:61], v[64:65], s[100:101], v[112:113]
	v_fma_f64 v[110:111], v[62:63], s[90:91], -v[110:111]
	v_fma_f64 v[112:113], v[64:65], s[88:89], v[112:113]
	v_add_f64_e32 v[86:87], v[102:103], v[86:87]
	v_add_f64_e32 v[102:103], v[180:181], v[164:165]
	;; [unrolled: 1-line block ×4, first 2 shown]
	v_fma_f64 v[76:77], v[62:63], s[34:35], -v[122:123]
	v_fma_f64 v[96:97], v[64:65], s[2:3], v[124:125]
	v_add_f64_e32 v[94:95], v[106:107], v[94:95]
	v_mul_f64_e32 v[142:143], s[96:97], v[80:81]
	v_mul_f64_e32 v[80:81], s[88:89], v[80:81]
	v_fma_f64 v[130:131], v[66:67], s[90:91], -v[130:131]
	v_add_f64_e32 v[28:29], v[28:29], v[88:89]
	v_fma_f64 v[88:89], v[72:73], s[102:103], v[140:141]
	v_fma_f64 v[132:133], v[72:73], s[100:101], v[132:133]
	v_add_f64_e32 v[26:27], v[26:27], v[30:31]
	v_add_f64_e32 v[24:25], v[24:25], v[32:33]
	v_fma_f64 v[30:31], v[62:63], s[34:35], v[122:123]
	v_add_f64_e32 v[20:21], v[20:21], v[40:41]
	v_fma_f64 v[32:33], v[64:65], vcc, v[124:125]
	v_add_f64_e32 v[40:41], v[98:99], v[82:83]
	v_add_f64_e32 v[82:83], v[100:101], v[84:85]
	;; [unrolled: 1-line block ×6, first 2 shown]
	v_fma_f64 v[122:123], v[62:63], s[94:95], v[48:49]
	v_fma_f64 v[124:125], v[64:65], s[16:17], v[56:57]
	v_add_f64_e32 v[44:45], v[44:45], v[170:171]
	v_add_f64_e32 v[106:107], v[108:109], v[172:173]
	v_fma_f64 v[48:49], v[62:63], s[94:95], -v[48:49]
	v_fma_f64 v[56:57], v[64:65], s[92:93], v[56:57]
	v_add_f64_e32 v[8:9], v[52:53], v[8:9]
	v_add_f64_e32 v[18:19], v[22:23], v[18:19]
	;; [unrolled: 1-line block ×5, first 2 shown]
	v_fma_f64 v[62:63], v[66:67], s[94:95], v[126:127]
	v_fma_f64 v[64:65], v[72:73], s[16:17], v[128:129]
	v_fma_f64 v[126:127], v[66:67], s[94:95], -v[126:127]
	v_fma_f64 v[128:129], v[72:73], s[92:93], v[128:129]
	v_fma_f64 v[58:59], v[66:67], s[98:99], v[138:139]
	v_fma_f64 v[50:51], v[66:67], s[34:35], -v[134:135]
	v_fma_f64 v[108:109], v[66:67], s[86:87], v[70:71]
	v_fma_f64 v[92:93], v[66:67], s[98:99], -v[138:139]
	v_fma_f64 v[104:105], v[72:73], s[96:97], v[140:141]
	v_add_f64_e32 v[46:47], v[118:119], v[46:47]
	v_add_f64_e32 v[76:77], v[76:77], v[94:95]
	v_fma_f64 v[52:53], v[72:73], s[2:3], v[136:137]
	v_add_f64_e32 v[86:87], v[114:115], v[86:87]
	v_add_f64_e32 v[28:29], v[116:117], v[28:29]
	v_fma_f64 v[138:139], v[78:79], s[96:97], v[144:145]
	v_fma_f64 v[94:95], v[78:79], s[16:17], v[152:153]
	v_add_f64_e32 v[26:27], v[26:27], v[34:35]
	v_add_f64_e32 v[24:25], v[24:25], v[36:37]
	v_fma_f64 v[34:35], v[66:67], s[34:35], v[134:135]
	v_add_f64_e32 v[20:21], v[54:55], v[20:21]
	v_fma_f64 v[36:37], v[72:73], vcc, v[136:137]
	v_add_f64_e32 v[40:41], v[110:111], v[40:41]
	v_add_f64_e32 v[54:55], v[112:113], v[82:83]
	;; [unrolled: 1-line block ×8, first 2 shown]
	v_fma_f64 v[134:135], v[72:73], s[0:1], v[68:69]
	v_add_f64_e32 v[44:45], v[122:123], v[44:45]
	v_add_f64_e32 v[90:91], v[124:125], v[106:107]
	v_fma_f64 v[66:67], v[66:67], s[86:87], -v[70:71]
	v_fma_f64 v[68:69], v[72:73], s[84:85], v[68:69]
	v_add_f64_e32 v[8:9], v[48:49], v[8:9]
	v_add_f64_e32 v[18:19], v[56:57], v[18:19]
	;; [unrolled: 1-line block ×5, first 2 shown]
	v_fma_f64 v[72:73], v[78:79], s[102:103], v[144:145]
	v_fma_f64 v[56:57], v[78:79], vcc, v[148:149]
	v_fma_f64 v[102:103], v[78:79], s[92:93], v[152:153]
	v_fma_f64 v[110:111], v[78:79], s[0:1], v[156:157]
	;; [unrolled: 1-line block ×6, first 2 shown]
	v_fma_f64 v[136:137], v[74:75], s[98:99], -v[142:143]
	v_fma_f64 v[116:117], v[74:75], s[90:91], v[80:81]
	v_fma_f64 v[70:71], v[74:75], s[98:99], v[142:143]
	v_fma_f64 v[48:49], v[74:75], s[34:35], -v[146:147]
	v_fma_f64 v[96:97], v[74:75], s[94:95], -v[150:151]
	;; [unrolled: 1-line block ×3, first 2 shown]
	v_add_f64_e32 v[46:47], v[50:51], v[46:47]
	v_add_f64_e32 v[12:13], v[26:27], v[12:13]
	;; [unrolled: 1-line block ×3, first 2 shown]
	v_fma_f64 v[24:25], v[74:75], s[34:35], v[146:147]
	v_fma_f64 v[26:27], v[78:79], s[2:3], v[148:149]
	;; [unrolled: 1-line block ×3, first 2 shown]
	v_add_f64_e32 v[20:21], v[62:63], v[20:21]
	v_add_f64_e32 v[38:39], v[126:127], v[40:41]
	;; [unrolled: 1-line block ×11, first 2 shown]
	v_fma_f64 v[74:75], v[74:75], s[90:91], -v[80:81]
	v_add_f64_e32 v[50:51], v[92:93], v[76:77]
	v_add_f64_e32 v[66:67], v[66:67], v[8:9]
	;; [unrolled: 1-line block ×8, first 2 shown]
	v_readlane_b32 s0, v198, 0
	v_readlane_b32 s1, v198, 1
	s_mov_b32 s2, 0x745d1746
	s_mov_b32 s3, 0x3fb745d1
	s_load_b64 s[0:1], s[0:1], 0x38
	v_add_f64_e32 v[84:85], v[12:13], v[4:5]
	v_add_f64_e32 v[6:7], v[14:15], v[6:7]
	;; [unrolled: 1-line block ×21, first 2 shown]
	v_mad_co_u64_u32 v[46:47], null, s30, v16, 0
	v_add_f64_e32 v[0:1], v[84:85], v[0:1]
	v_add_f64_e32 v[2:3], v[6:7], v[2:3]
	;; [unrolled: 1-line block ×3, first 2 shown]
	ds_store_b128 v17, v[12:15] offset:32
	ds_store_b128 v17, v[22:25] offset:48
	;; [unrolled: 1-line block ×9, first 2 shown]
	ds_store_b128 v17, v[0:3]
	ds_store_b128 v17, v[4:7] offset:16
	v_mad_co_u64_u32 v[26:27], null, s31, v16, v[47:48]
	global_wb scope:SCOPE_SE
	s_wait_dscnt 0x0
	s_wait_kmcnt 0x0
	s_barrier_signal -1
	s_barrier_wait -1
	global_inv scope:SCOPE_SE
	ds_load_b128 v[0:3], v17
	ds_load_b128 v[4:7], v17 offset:16
	ds_load_b128 v[8:11], v17 offset:32
	;; [unrolled: 1-line block ×5, first 2 shown]
	v_mov_b32_e32 v47, v26
	ds_load_b128 v[26:29], v17 offset:96
	ds_load_b128 v[30:33], v17 offset:112
	;; [unrolled: 1-line block ×5, first 2 shown]
	v_lshlrev_b64_e32 v[46:47], 4, v[46:47]
	s_delay_alu instid0(VALU_DEP_1) | instskip(SKIP_1) | instid1(VALU_DEP_2)
	v_add_co_u32 v46, vcc_lo, s0, v46
	s_wait_alu 0xfffd
	v_add_co_ci_u32_e32 v47, vcc_lo, s1, v47, vcc_lo
	s_lshl_b64 s[0:1], s[28:29], 7
	s_wait_dscnt 0xa
	v_mul_f64_e32 v[16:17], s[54:55], v[2:3]
	v_mul_f64_e32 v[48:49], s[54:55], v[0:1]
	s_wait_dscnt 0x9
	v_mul_f64_e32 v[50:51], s[58:59], v[6:7]
	v_mul_f64_e32 v[52:53], s[58:59], v[4:5]
	;; [unrolled: 3-line block ×11, first 2 shown]
	s_lshl_b64 s[6:7], s[28:29], 4
	s_lshl_b64 s[10:11], s[28:29], 5
	s_wait_alu 0xfffe
	v_add_co_u32 v90, vcc_lo, v46, s6
	s_wait_alu 0xfffd
	v_add_co_ci_u32_e32 v91, vcc_lo, s7, v47, vcc_lo
	v_add_co_u32 v92, vcc_lo, v46, s10
	s_lshl_b64 s[14:15], s[28:29], 6
	s_wait_alu 0xfffd
	v_add_co_ci_u32_e32 v93, vcc_lo, s11, v47, vcc_lo
	v_fma_f64 v[0:1], s[52:53], v[0:1], v[16:17]
	v_fma_f64 v[2:3], s[52:53], v[2:3], -v[48:49]
	v_fma_f64 v[4:5], s[56:57], v[4:5], v[50:51]
	v_fma_f64 v[6:7], s[56:57], v[6:7], -v[52:53]
	v_fma_f64 v[8:9], s[60:61], v[8:9], v[54:55]
	v_fma_f64 v[10:11], s[60:61], v[10:11], -v[56:57]
	v_fma_f64 v[12:13], s[64:65], v[12:13], v[58:59]
	v_fma_f64 v[14:15], s[64:65], v[14:15], -v[60:61]
	v_fma_f64 v[16:17], s[36:37], v[18:19], v[62:63]
	v_fma_f64 v[18:19], s[36:37], v[20:21], -v[64:65]
	v_fma_f64 v[20:21], s[40:41], v[22:23], v[66:67]
	v_fma_f64 v[22:23], s[40:41], v[24:25], -v[68:69]
	v_fma_f64 v[24:25], s[44:45], v[26:27], v[70:71]
	v_fma_f64 v[26:27], s[44:45], v[28:29], -v[72:73]
	v_fma_f64 v[28:29], s[48:49], v[30:31], v[74:75]
	v_fma_f64 v[30:31], s[48:49], v[32:33], -v[76:77]
	v_fma_f64 v[32:33], s[4:5], v[34:35], v[78:79]
	v_fma_f64 v[34:35], s[4:5], v[36:37], -v[80:81]
	v_fma_f64 v[36:37], s[8:9], v[38:39], v[82:83]
	v_fma_f64 v[38:39], s[8:9], v[40:41], -v[84:85]
	v_fma_f64 v[40:41], s[12:13], v[42:43], v[86:87]
	v_fma_f64 v[42:43], s[12:13], v[44:45], -v[88:89]
	v_mad_co_u64_u32 v[44:45], null, s28, 48, v[46:47]
	v_mad_co_u64_u32 v[50:51], null, 0x50, s28, v[46:47]
	;; [unrolled: 1-line block ×8, first 2 shown]
	v_mul_f64_e32 v[0:1], s[2:3], v[0:1]
	v_mul_f64_e32 v[2:3], s[2:3], v[2:3]
	;; [unrolled: 1-line block ×22, first 2 shown]
	v_mad_co_u64_u32 v[62:63], null, 0x60, s29, v[53:54]
	v_mad_co_u64_u32 v[63:64], null, 0x70, s29, v[55:56]
	;; [unrolled: 1-line block ×4, first 2 shown]
	s_wait_alu 0xfffe
	v_add_co_u32 v48, vcc_lo, v46, s14
	s_wait_alu 0xfffd
	v_add_co_ci_u32_e32 v49, vcc_lo, s15, v47, vcc_lo
	v_add_co_u32 v66, vcc_lo, v46, s0
	v_mov_b32_e32 v45, v60
	s_wait_alu 0xfffd
	v_add_co_ci_u32_e32 v67, vcc_lo, s1, v47, vcc_lo
	v_mov_b32_e32 v51, v61
	v_mov_b32_e32 v53, v62
	;; [unrolled: 1-line block ×5, first 2 shown]
	s_clause 0xa
	global_store_b128 v[46:47], v[0:3], off
	global_store_b128 v[90:91], v[4:7], off
	;; [unrolled: 1-line block ×11, first 2 shown]
.LBB0_2:
	s_nop 0
	s_sendmsg sendmsg(MSG_DEALLOC_VGPRS)
	s_endpgm
	.section	.rodata,"a",@progbits
	.p2align	6, 0x0
	.amdhsa_kernel bluestein_single_fwd_len11_dim1_dp_op_CI_CI
		.amdhsa_group_segment_fixed_size 22528
		.amdhsa_private_segment_fixed_size 0
		.amdhsa_kernarg_size 104
		.amdhsa_user_sgpr_count 2
		.amdhsa_user_sgpr_dispatch_ptr 0
		.amdhsa_user_sgpr_queue_ptr 0
		.amdhsa_user_sgpr_kernarg_segment_ptr 1
		.amdhsa_user_sgpr_dispatch_id 0
		.amdhsa_user_sgpr_private_segment_size 0
		.amdhsa_wavefront_size32 1
		.amdhsa_uses_dynamic_stack 0
		.amdhsa_enable_private_segment 0
		.amdhsa_system_sgpr_workgroup_id_x 1
		.amdhsa_system_sgpr_workgroup_id_y 0
		.amdhsa_system_sgpr_workgroup_id_z 0
		.amdhsa_system_sgpr_workgroup_info 0
		.amdhsa_system_vgpr_workitem_id 0
		.amdhsa_next_free_vgpr 199
		.amdhsa_next_free_sgpr 104
		.amdhsa_reserve_vcc 1
		.amdhsa_float_round_mode_32 0
		.amdhsa_float_round_mode_16_64 0
		.amdhsa_float_denorm_mode_32 3
		.amdhsa_float_denorm_mode_16_64 3
		.amdhsa_fp16_overflow 0
		.amdhsa_workgroup_processor_mode 1
		.amdhsa_memory_ordered 1
		.amdhsa_forward_progress 0
		.amdhsa_round_robin_scheduling 0
		.amdhsa_exception_fp_ieee_invalid_op 0
		.amdhsa_exception_fp_denorm_src 0
		.amdhsa_exception_fp_ieee_div_zero 0
		.amdhsa_exception_fp_ieee_overflow 0
		.amdhsa_exception_fp_ieee_underflow 0
		.amdhsa_exception_fp_ieee_inexact 0
		.amdhsa_exception_int_div_zero 0
	.end_amdhsa_kernel
	.text
.Lfunc_end0:
	.size	bluestein_single_fwd_len11_dim1_dp_op_CI_CI, .Lfunc_end0-bluestein_single_fwd_len11_dim1_dp_op_CI_CI
                                        ; -- End function
	.section	.AMDGPU.csdata,"",@progbits
; Kernel info:
; codeLenInByte = 6436
; NumSgprs: 106
; NumVgprs: 199
; ScratchSize: 0
; MemoryBound: 0
; FloatMode: 240
; IeeeMode: 1
; LDSByteSize: 22528 bytes/workgroup (compile time only)
; SGPRBlocks: 13
; VGPRBlocks: 24
; NumSGPRsForWavesPerEU: 106
; NumVGPRsForWavesPerEU: 199
; Occupancy: 5
; WaveLimiterHint : 1
; COMPUTE_PGM_RSRC2:SCRATCH_EN: 0
; COMPUTE_PGM_RSRC2:USER_SGPR: 2
; COMPUTE_PGM_RSRC2:TRAP_HANDLER: 0
; COMPUTE_PGM_RSRC2:TGID_X_EN: 1
; COMPUTE_PGM_RSRC2:TGID_Y_EN: 0
; COMPUTE_PGM_RSRC2:TGID_Z_EN: 0
; COMPUTE_PGM_RSRC2:TIDIG_COMP_CNT: 0
	.text
	.p2alignl 7, 3214868480
	.fill 96, 4, 3214868480
	.type	__hip_cuid_ebcb8f0f3b2c1876,@object ; @__hip_cuid_ebcb8f0f3b2c1876
	.section	.bss,"aw",@nobits
	.globl	__hip_cuid_ebcb8f0f3b2c1876
__hip_cuid_ebcb8f0f3b2c1876:
	.byte	0                               ; 0x0
	.size	__hip_cuid_ebcb8f0f3b2c1876, 1

	.ident	"AMD clang version 19.0.0git (https://github.com/RadeonOpenCompute/llvm-project roc-6.4.0 25133 c7fe45cf4b819c5991fe208aaa96edf142730f1d)"
	.section	".note.GNU-stack","",@progbits
	.addrsig
	.addrsig_sym __hip_cuid_ebcb8f0f3b2c1876
	.amdgpu_metadata
---
amdhsa.kernels:
  - .args:
      - .actual_access:  read_only
        .address_space:  global
        .offset:         0
        .size:           8
        .value_kind:     global_buffer
      - .actual_access:  read_only
        .address_space:  global
        .offset:         8
        .size:           8
        .value_kind:     global_buffer
      - .actual_access:  read_only
        .address_space:  global
        .offset:         16
        .size:           8
        .value_kind:     global_buffer
      - .actual_access:  read_only
        .address_space:  global
        .offset:         24
        .size:           8
        .value_kind:     global_buffer
      - .actual_access:  read_only
        .address_space:  global
        .offset:         32
        .size:           8
        .value_kind:     global_buffer
      - .offset:         40
        .size:           8
        .value_kind:     by_value
      - .address_space:  global
        .offset:         48
        .size:           8
        .value_kind:     global_buffer
      - .address_space:  global
        .offset:         56
        .size:           8
        .value_kind:     global_buffer
      - .address_space:  global
        .offset:         64
        .size:           8
        .value_kind:     global_buffer
      - .address_space:  global
        .offset:         72
        .size:           8
        .value_kind:     global_buffer
      - .offset:         80
        .size:           4
        .value_kind:     by_value
      - .address_space:  global
        .offset:         88
        .size:           8
        .value_kind:     global_buffer
      - .address_space:  global
        .offset:         96
        .size:           8
        .value_kind:     global_buffer
    .group_segment_fixed_size: 22528
    .kernarg_segment_align: 8
    .kernarg_segment_size: 104
    .language:       OpenCL C
    .language_version:
      - 2
      - 0
    .max_flat_workgroup_size: 128
    .name:           bluestein_single_fwd_len11_dim1_dp_op_CI_CI
    .private_segment_fixed_size: 0
    .sgpr_count:     106
    .sgpr_spill_count: 2
    .symbol:         bluestein_single_fwd_len11_dim1_dp_op_CI_CI.kd
    .uniform_work_group_size: 1
    .uses_dynamic_stack: false
    .vgpr_count:     199
    .vgpr_spill_count: 0
    .wavefront_size: 32
    .workgroup_processor_mode: 1
amdhsa.target:   amdgcn-amd-amdhsa--gfx1201
amdhsa.version:
  - 1
  - 2
...

	.end_amdgpu_metadata
